;; amdgpu-corpus repo=zjin-lcf/HeCBench kind=compiled arch=gfx1100 opt=O3
	.text
	.amdgcn_target "amdgcn-amd-amdhsa--gfx1100"
	.amdhsa_code_object_version 6
	.protected	_Z15sobolGPU_kerneljjPjPf ; -- Begin function _Z15sobolGPU_kerneljjPjPf
	.globl	_Z15sobolGPU_kerneljjPjPf
	.p2align	8
	.type	_Z15sobolGPU_kerneljjPjPf,@function
_Z15sobolGPU_kerneljjPjPf:              ; @_Z15sobolGPU_kerneljjPjPf
; %bb.0:
	s_mov_b32 s2, exec_lo
	v_cmpx_gt_u32_e32 32, v0
	s_cbranch_execz .LBB0_2
; %bb.1:
	s_load_b64 s[4:5], s[0:1], 0x8
	s_lshl_b32 s6, s15, 5
	s_mov_b32 s7, 0
	v_lshlrev_b32_e32 v1, 2, v0
	s_lshl_b64 s[6:7], s[6:7], 2
	s_waitcnt lgkmcnt(0)
	s_add_u32 s4, s4, s6
	s_addc_u32 s5, s5, s7
	global_load_b32 v2, v1, s[4:5]
	s_waitcnt vmcnt(0)
	ds_store_b32 v1, v2
.LBB0_2:
	s_or_b32 exec_lo, exec_lo, s2
	s_waitcnt lgkmcnt(0)
	s_barrier
	buffer_gl0_inv
	s_clause 0x2
	s_load_b32 s4, s[0:1], 0x24
	s_load_b32 s7, s[0:1], 0x18
	s_load_b64 s[2:3], s[0:1], 0x10
	v_mov_b32_e32 v3, 0
	s_mov_b32 s10, 0
	s_waitcnt lgkmcnt(0)
	s_and_b32 s6, s4, 0xffff
	s_delay_alu instid0(SALU_CYCLE_1) | instskip(NEXT) | instid1(SALU_CYCLE_1)
	s_mul_i32 s4, s7, s6
	s_ctz_i32_b32 s5, s4
	s_delay_alu instid0(SALU_CYCLE_1)
	s_add_i32 s8, s5, 1
	s_cmp_lg_u32 s4, 0
	s_mul_i32 s5, s14, s6
	s_cselect_b32 s8, s8, 0
	v_add_nc_u32_e32 v1, s5, v0
	s_add_i32 s9, s8, -1
	s_delay_alu instid0(SALU_CYCLE_1)
	s_cmp_eq_u32 s9, 0
	s_cbranch_scc1 .LBB0_9
; %bb.3:
	s_delay_alu instid0(VALU_DEP_1) | instskip(SKIP_2) | instid1(SALU_CYCLE_1)
	v_ashrrev_i32_e32 v2, 1, v1
	v_mov_b32_e32 v3, 0
	s_add_i32 s11, s8, -2
	s_cmp_lt_u32 s11, 7
	s_delay_alu instid0(VALU_DEP_2)
	v_xor_b32_e32 v2, v2, v1
	s_cbranch_scc1 .LBB0_6
; %bb.4:
	v_mov_b32_e32 v3, 0
	s_and_b32 s10, s9, -8
	s_mov_b32 s11, 0
	s_mov_b32 s12, 0
	s_set_inst_prefetch_distance 0x1
	.p2align	6
.LBB0_5:                                ; =>This Inner Loop Header: Depth=1
	s_delay_alu instid0(VALU_DEP_3)
	v_bfe_i32 v13, v2, 1, 1
	v_mov_b32_e32 v8, s11
	v_bfe_i32 v12, v2, 0, 1
	v_bfe_i32 v14, v2, 2, 1
	v_bfe_i32 v15, v2, 3, 1
	ds_load_b128 v[4:7], v8
	ds_load_b128 v[8:11], v8 offset:16
	s_add_i32 s12, s12, 8
	s_add_i32 s11, s11, 32
	s_cmp_eq_u32 s10, s12
	s_waitcnt lgkmcnt(1)
	v_and_b32_e32 v5, v13, v5
	v_and_b32_e32 v4, v12, v4
	v_bfe_i32 v12, v2, 4, 1
	v_bfe_i32 v13, v2, 5, 1
	v_and_b32_e32 v6, v14, v6
	v_and_b32_e32 v7, v15, v7
	v_xor3_b32 v3, v4, v3, v5
	v_bfe_i32 v4, v2, 6, 1
	v_bfe_i32 v5, v2, 7, 1
	s_waitcnt lgkmcnt(0)
	v_and_b32_e32 v8, v12, v8
	v_and_b32_e32 v9, v13, v9
	v_xor3_b32 v3, v6, v3, v7
	v_and_b32_e32 v4, v4, v10
	v_and_b32_e32 v5, v5, v11
	v_lshrrev_b32_e32 v2, 8, v2
	s_delay_alu instid0(VALU_DEP_4) | instskip(NEXT) | instid1(VALU_DEP_1)
	v_xor3_b32 v3, v8, v3, v9
	v_xor3_b32 v3, v4, v3, v5
	s_cbranch_scc0 .LBB0_5
.LBB0_6:
	s_set_inst_prefetch_distance 0x2
	s_and_b32 s9, s9, 7
	s_delay_alu instid0(SALU_CYCLE_1)
	s_cmp_eq_u32 s9, 0
	s_cbranch_scc1 .LBB0_9
; %bb.7:
	s_lshl_b32 s10, s10, 2
.LBB0_8:                                ; =>This Inner Loop Header: Depth=1
	s_delay_alu instid0(SALU_CYCLE_1)
	v_mov_b32_e32 v4, s10
	v_bfe_i32 v5, v2, 0, 1
	v_lshrrev_b32_e32 v2, 1, v2
	s_add_i32 s9, s9, -1
	s_add_i32 s10, s10, 4
	ds_load_b32 v4, v4
	s_cmp_lg_u32 s9, 0
	s_waitcnt lgkmcnt(0)
	v_and_b32_e32 v4, v5, v4
	s_delay_alu instid0(VALU_DEP_1)
	v_xor_b32_e32 v3, v4, v3
	s_cbranch_scc1 .LBB0_8
.LBB0_9:
	s_load_b32 s1, s[0:1], 0x0
	s_mov_b32 s11, 0
	s_mov_b32 s0, exec_lo
	s_waitcnt lgkmcnt(0)
	s_mul_i32 s10, s15, s1
	s_delay_alu instid0(SALU_CYCLE_1) | instskip(NEXT) | instid1(SALU_CYCLE_1)
	s_lshl_b64 s[10:11], s[10:11], 2
	s_add_u32 s2, s2, s10
	s_addc_u32 s3, s3, s11
	v_cmpx_gt_u32_e64 s1, v1
	s_cbranch_execz .LBB0_11
; %bb.10:
	v_ashrrev_i32_e32 v2, 31, v1
	s_delay_alu instid0(VALU_DEP_1) | instskip(SKIP_1) | instid1(VALU_DEP_1)
	v_lshlrev_b64 v[4:5], 2, v[1:2]
	v_cvt_f32_u32_e32 v2, v3
	v_mul_f32_e32 v2, 0x2f800000, v2
	s_delay_alu instid0(VALU_DEP_3) | instskip(NEXT) | instid1(VALU_DEP_4)
	v_add_co_u32 v4, vcc_lo, s2, v4
	v_add_co_ci_u32_e32 v5, vcc_lo, s3, v5, vcc_lo
	global_store_b32 v[4:5], v2, off
.LBB0_11:
	s_or_b32 exec_lo, exec_lo, s0
	v_add_nc_u32_e32 v1, s4, v1
	s_mov_b32 s0, exec_lo
	s_delay_alu instid0(VALU_DEP_1)
	v_cmpx_gt_u32_e64 s1, v1
	s_cbranch_execz .LBB0_14
; %bb.12:
	s_lshl_b32 s0, s8, 2
	s_mov_b32 s8, 0
	s_add_i32 s0, s0, -8
	s_delay_alu instid0(SALU_CYCLE_1)
	v_dual_mov_b32 v2, 0 :: v_dual_mov_b32 v1, s0
	s_add_i32 s0, s14, s7
	s_add_i32 s7, s4, -1
	s_mul_i32 s6, s0, s6
	ds_load_b32 v4, v1
	.p2align	6
.LBB0_13:                               ; =>This Inner Loop Header: Depth=1
	v_add_nc_u32_e32 v1, s5, v0
	s_delay_alu instid0(VALU_DEP_1) | instskip(NEXT) | instid1(VALU_DEP_1)
	v_or_b32_e32 v1, s7, v1
	v_not_b32_e32 v5, v1
	v_cmp_ne_u32_e32 vcc_lo, -1, v1
	s_delay_alu instid0(VALU_DEP_2) | instskip(NEXT) | instid1(VALU_DEP_1)
	v_ctz_i32_b32_e32 v5, v5
	v_cndmask_b32_e32 v1, -1, v5, vcc_lo
	s_delay_alu instid0(VALU_DEP_1) | instskip(SKIP_3) | instid1(VALU_DEP_1)
	v_lshlrev_b32_e32 v1, 2, v1
	ds_load_b32 v5, v1
	v_add_nc_u32_e32 v1, s6, v0
	v_add_nc_u32_e32 v0, s4, v0
	;; [unrolled: 1-line block ×3, first 2 shown]
	s_delay_alu instid0(VALU_DEP_1) | instskip(SKIP_4) | instid1(VALU_DEP_2)
	v_cmp_le_u32_e32 vcc_lo, s1, v7
	s_or_b32 s8, vcc_lo, s8
	s_waitcnt lgkmcnt(0)
	v_xor3_b32 v3, v3, v4, v5
	v_lshlrev_b64 v[5:6], 2, v[1:2]
	v_cvt_f32_u32_e32 v1, v3
	s_delay_alu instid0(VALU_DEP_2) | instskip(NEXT) | instid1(VALU_DEP_1)
	v_add_co_u32 v5, s0, s2, v5
	v_add_co_ci_u32_e64 v6, s0, s3, v6, s0
	s_delay_alu instid0(VALU_DEP_3)
	v_mul_f32_e32 v1, 0x2f800000, v1
	global_store_b32 v[5:6], v1, off
	s_and_not1_b32 exec_lo, exec_lo, s8
	s_cbranch_execnz .LBB0_13
.LBB0_14:
	s_nop 0
	s_sendmsg sendmsg(MSG_DEALLOC_VGPRS)
	s_endpgm
	.section	.rodata,"a",@progbits
	.p2align	6, 0x0
	.amdhsa_kernel _Z15sobolGPU_kerneljjPjPf
		.amdhsa_group_segment_fixed_size 128
		.amdhsa_private_segment_fixed_size 0
		.amdhsa_kernarg_size 280
		.amdhsa_user_sgpr_count 14
		.amdhsa_user_sgpr_dispatch_ptr 0
		.amdhsa_user_sgpr_queue_ptr 0
		.amdhsa_user_sgpr_kernarg_segment_ptr 1
		.amdhsa_user_sgpr_dispatch_id 0
		.amdhsa_user_sgpr_private_segment_size 0
		.amdhsa_wavefront_size32 1
		.amdhsa_uses_dynamic_stack 0
		.amdhsa_enable_private_segment 0
		.amdhsa_system_sgpr_workgroup_id_x 1
		.amdhsa_system_sgpr_workgroup_id_y 1
		.amdhsa_system_sgpr_workgroup_id_z 0
		.amdhsa_system_sgpr_workgroup_info 0
		.amdhsa_system_vgpr_workitem_id 0
		.amdhsa_next_free_vgpr 16
		.amdhsa_next_free_sgpr 16
		.amdhsa_reserve_vcc 1
		.amdhsa_float_round_mode_32 0
		.amdhsa_float_round_mode_16_64 0
		.amdhsa_float_denorm_mode_32 3
		.amdhsa_float_denorm_mode_16_64 3
		.amdhsa_dx10_clamp 1
		.amdhsa_ieee_mode 1
		.amdhsa_fp16_overflow 0
		.amdhsa_workgroup_processor_mode 1
		.amdhsa_memory_ordered 1
		.amdhsa_forward_progress 0
		.amdhsa_shared_vgpr_count 0
		.amdhsa_exception_fp_ieee_invalid_op 0
		.amdhsa_exception_fp_denorm_src 0
		.amdhsa_exception_fp_ieee_div_zero 0
		.amdhsa_exception_fp_ieee_overflow 0
		.amdhsa_exception_fp_ieee_underflow 0
		.amdhsa_exception_fp_ieee_inexact 0
		.amdhsa_exception_int_div_zero 0
	.end_amdhsa_kernel
	.text
.Lfunc_end0:
	.size	_Z15sobolGPU_kerneljjPjPf, .Lfunc_end0-_Z15sobolGPU_kerneljjPjPf
                                        ; -- End function
	.section	.AMDGPU.csdata,"",@progbits
; Kernel info:
; codeLenInByte = 840
; NumSgprs: 18
; NumVgprs: 16
; ScratchSize: 0
; MemoryBound: 0
; FloatMode: 240
; IeeeMode: 1
; LDSByteSize: 128 bytes/workgroup (compile time only)
; SGPRBlocks: 2
; VGPRBlocks: 1
; NumSGPRsForWavesPerEU: 18
; NumVGPRsForWavesPerEU: 16
; Occupancy: 16
; WaveLimiterHint : 0
; COMPUTE_PGM_RSRC2:SCRATCH_EN: 0
; COMPUTE_PGM_RSRC2:USER_SGPR: 14
; COMPUTE_PGM_RSRC2:TRAP_HANDLER: 0
; COMPUTE_PGM_RSRC2:TGID_X_EN: 1
; COMPUTE_PGM_RSRC2:TGID_Y_EN: 1
; COMPUTE_PGM_RSRC2:TGID_Z_EN: 0
; COMPUTE_PGM_RSRC2:TIDIG_COMP_CNT: 0
	.text
	.p2alignl 7, 3214868480
	.fill 96, 4, 3214868480
	.type	__hip_cuid_2499b856bafbd2c2,@object ; @__hip_cuid_2499b856bafbd2c2
	.section	.bss,"aw",@nobits
	.globl	__hip_cuid_2499b856bafbd2c2
__hip_cuid_2499b856bafbd2c2:
	.byte	0                               ; 0x0
	.size	__hip_cuid_2499b856bafbd2c2, 1

	.ident	"AMD clang version 19.0.0git (https://github.com/RadeonOpenCompute/llvm-project roc-6.4.0 25133 c7fe45cf4b819c5991fe208aaa96edf142730f1d)"
	.section	".note.GNU-stack","",@progbits
	.addrsig
	.addrsig_sym __hip_cuid_2499b856bafbd2c2
	.amdgpu_metadata
---
amdhsa.kernels:
  - .args:
      - .offset:         0
        .size:           4
        .value_kind:     by_value
      - .offset:         4
        .size:           4
        .value_kind:     by_value
      - .actual_access:  read_only
        .address_space:  global
        .offset:         8
        .size:           8
        .value_kind:     global_buffer
      - .actual_access:  write_only
        .address_space:  global
        .offset:         16
        .size:           8
        .value_kind:     global_buffer
      - .offset:         24
        .size:           4
        .value_kind:     hidden_block_count_x
      - .offset:         28
        .size:           4
        .value_kind:     hidden_block_count_y
      - .offset:         32
        .size:           4
        .value_kind:     hidden_block_count_z
      - .offset:         36
        .size:           2
        .value_kind:     hidden_group_size_x
      - .offset:         38
        .size:           2
        .value_kind:     hidden_group_size_y
      - .offset:         40
        .size:           2
        .value_kind:     hidden_group_size_z
      - .offset:         42
        .size:           2
        .value_kind:     hidden_remainder_x
      - .offset:         44
        .size:           2
        .value_kind:     hidden_remainder_y
      - .offset:         46
        .size:           2
        .value_kind:     hidden_remainder_z
      - .offset:         64
        .size:           8
        .value_kind:     hidden_global_offset_x
      - .offset:         72
        .size:           8
        .value_kind:     hidden_global_offset_y
      - .offset:         80
        .size:           8
        .value_kind:     hidden_global_offset_z
      - .offset:         88
        .size:           2
        .value_kind:     hidden_grid_dims
    .group_segment_fixed_size: 128
    .kernarg_segment_align: 8
    .kernarg_segment_size: 280
    .language:       OpenCL C
    .language_version:
      - 2
      - 0
    .max_flat_workgroup_size: 1024
    .name:           _Z15sobolGPU_kerneljjPjPf
    .private_segment_fixed_size: 0
    .sgpr_count:     18
    .sgpr_spill_count: 0
    .symbol:         _Z15sobolGPU_kerneljjPjPf.kd
    .uniform_work_group_size: 1
    .uses_dynamic_stack: false
    .vgpr_count:     16
    .vgpr_spill_count: 0
    .wavefront_size: 32
    .workgroup_processor_mode: 1
amdhsa.target:   amdgcn-amd-amdhsa--gfx1100
amdhsa.version:
  - 1
  - 2
...

	.end_amdgpu_metadata
